;; amdgpu-corpus repo=zjin-lcf/HeCBench kind=compiled arch=gfx1250 opt=O3
	.amdgcn_target "amdgcn-amd-amdhsa--gfx1250"
	.amdhsa_code_object_version 6
	.text
	.protected	_Z23cuComputeDistanceGlobalPKfiS0_iiPf ; -- Begin function _Z23cuComputeDistanceGlobalPKfiS0_iiPf
	.globl	_Z23cuComputeDistanceGlobalPKfiS0_iiPf
	.p2align	8
	.type	_Z23cuComputeDistanceGlobalPKfiS0_iiPf,@function
_Z23cuComputeDistanceGlobalPKfiS0_iiPf: ; @_Z23cuComputeDistanceGlobalPKfiS0_iiPf
; %bb.0:
	s_clause 0x1
	s_load_b32 s4, s[0:1], 0x8
	s_load_b64 s[6:7], s[0:1], 0x18
	s_bfe_u32 s2, ttmp6, 0x4000c
	s_bfe_u32 s5, ttmp6, 0x40010
	s_add_co_i32 s2, s2, 1
	s_and_b32 s3, ttmp6, 15
	s_mul_i32 s2, ttmp9, s2
	s_add_co_i32 s5, s5, 1
	s_add_co_i32 s3, s3, s2
	s_mul_i32 s2, ttmp7, s5
	s_bfe_u32 s5, ttmp6, 0x40004
	s_getreg_b32 s8, hwreg(HW_REG_IB_STS2, 6, 4)
	s_add_co_i32 s5, s5, s2
	s_cmp_eq_u32 s8, 0
	v_and_b32_e32 v9, 0x3ff, v0
	v_bfe_u32 v2, v0, 10, 10
	s_cselect_b32 s2, ttmp9, s3
	s_cselect_b32 s3, ttmp7, s5
	s_lshl_b32 s12, s2, 4
	s_lshl_b32 s14, s3, 4
	s_delay_alu instid0(SALU_CYCLE_1)
	v_dual_add_nc_u32 v0, s12, v9 :: v_dual_add_nc_u32 v1, s14, v2
	s_wait_kmcnt 0x0
	s_add_co_i32 s19, s7, -1
	s_mov_b32 s5, 0
	s_mul_i32 s19, s19, s4
	v_cmp_gt_i32_e64 s2, s6, v0
	v_cmp_gt_i32_e64 s3, s4, v1
	s_cmp_gt_i32 s19, -1
	s_mov_b32 s8, -1
	s_cbranch_scc0 .LBB0_13
; %bb.1:
	s_abs_i32 s16, s4
	s_clause 0x1
	s_load_b64 s[8:9], s[0:1], 0x0
	s_load_b64 s[10:11], s[0:1], 0x10
	s_cvt_f32_u32 s13, s16
	v_mul_lo_u32 v11, s6, v2
	v_dual_mov_b32 v4, 0 :: v_dual_lshlrev_b32 v7, 2, v9
	s_delay_alu instid0(SALU_CYCLE_1) | instskip(SKIP_2) | instid1(VALU_DEP_3)
	v_rcp_iflag_f32_e32 v3, s13
	v_dual_add_nc_u32 v6, s14, v9 :: v_dual_lshlrev_b32 v8, 6, v2
	v_mul_i32_i24_e32 v12, 0xffffffc4, v2
	v_dual_mov_b32 v10, 0 :: v_dual_add_nc_u32 v5, 0x400, v7
	s_sub_co_i32 s20, 0, s16
	s_delay_alu instid0(TRANS32_DEP_1)
	v_readfirstlane_b32 s13, v3
	v_mad_u32 v3, s4, v2, v9
	v_cmp_gt_i32_e32 vcc_lo, s4, v6
	v_dual_add_nc_u32 v6, v8, v7 :: v_dual_add_nc_u32 v7, v8, v12
	s_mul_f32 s13, s13, 0x4f7ffffe
	v_add_nc_u32_e32 v8, v5, v8
	v_add3_u32 v9, v9, v11, s12
	s_lshl_b32 s17, s4, 4
	s_cvt_u32_f32 s13, s13
	s_lshl_b32 s18, s6, 4
	s_add_co_i32 s19, s19, s14
	s_and_b32 s15, s3, s2
	s_mul_i32 s20, s20, s13
	s_delay_alu instid0(SALU_CYCLE_1)
	s_mul_hi_u32 s12, s13, s20
	s_ashr_i32 s20, s4, 31
	s_add_co_i32 s12, s13, s12
	s_mov_b32 s13, s5
	s_branch .LBB0_3
.LBB0_2:                                ;   in Loop: Header=BB0_3 Depth=1
	s_or_b32 exec_lo, exec_lo, s4
	v_add_nc_u32_e32 v9, s18, v9
	s_add_co_i32 s14, s14, s17
	s_delay_alu instid0(SALU_CYCLE_1)
	s_cmp_gt_i32 s14, s19
	s_barrier_signal -1
	s_barrier_wait -1
	s_cbranch_scc1 .LBB0_14
.LBB0_3:                                ; =>This Inner Loop Header: Depth=1
	s_abs_i32 s4, s14
	s_ashr_i32 s21, s14, 31
	s_mul_u64 s[22:23], s[4:5], s[12:13]
	s_xor_b32 s21, s21, s20
	s_mul_i32 s22, s23, s16
	s_delay_alu instid0(SALU_CYCLE_1)
	s_sub_co_i32 s4, s4, s22
	s_add_co_i32 s22, s23, 1
	s_sub_co_i32 s24, s4, s16
	s_cmp_ge_u32 s4, s16
	s_cselect_b32 s22, s22, s23
	s_cselect_b32 s4, s24, s4
	s_add_co_i32 s23, s22, 1
	s_cmp_ge_u32 s4, s16
	s_cselect_b32 s4, s23, s22
	s_delay_alu instid0(SALU_CYCLE_1) | instskip(NEXT) | instid1(SALU_CYCLE_1)
	s_xor_b32 s4, s4, s21
	s_sub_co_i32 s4, s4, s21
	s_delay_alu instid0(SALU_CYCLE_1) | instskip(NEXT) | instid1(VALU_DEP_1)
	v_add_nc_u32_e32 v11, s4, v2
	v_cmp_le_i32_e64 s4, s7, v11
	s_and_saveexec_b32 s21, s4
	s_delay_alu instid0(SALU_CYCLE_1)
	s_xor_b32 s4, exec_lo, s21
; %bb.4:                                ;   in Loop: Header=BB0_3 Depth=1
	ds_store_b32 v6, v4
; %bb.5:                                ;   in Loop: Header=BB0_3 Depth=1
	s_or_saveexec_b32 s4, s4
	v_mov_b32_e32 v11, 0
	s_xor_b32 exec_lo, exec_lo, s4
	s_cbranch_execz .LBB0_11
; %bb.6:                                ;   in Loop: Header=BB0_3 Depth=1
	v_dual_mov_b32 v11, 0 :: v_dual_mov_b32 v12, 0
	s_and_saveexec_b32 s21, vcc_lo
	s_cbranch_execz .LBB0_8
; %bb.7:                                ;   in Loop: Header=BB0_3 Depth=1
	v_add_nc_u32_e32 v12, s14, v3
	s_wait_kmcnt 0x0
	global_load_b32 v12, v12, s[8:9] scale_offset
.LBB0_8:                                ;   in Loop: Header=BB0_3 Depth=1
	s_wait_xcnt 0x0
	s_or_b32 exec_lo, exec_lo, s21
	s_wait_loadcnt 0x0
	ds_store_b32 v6, v12
	s_and_saveexec_b32 s21, s2
	s_cbranch_execz .LBB0_10
; %bb.9:                                ;   in Loop: Header=BB0_3 Depth=1
	s_wait_kmcnt 0x0
	global_load_b32 v11, v9, s[10:11] scale_offset
.LBB0_10:                               ;   in Loop: Header=BB0_3 Depth=1
	s_wait_xcnt 0x0
	s_or_b32 exec_lo, exec_lo, s21
.LBB0_11:                               ;   in Loop: Header=BB0_3 Depth=1
	s_delay_alu instid0(SALU_CYCLE_1)
	s_or_b32 exec_lo, exec_lo, s4
	s_wait_loadcnt 0x0
	ds_store_b32 v8, v11
	s_wait_dscnt 0x0
	s_barrier_signal -1
	s_barrier_wait -1
	s_and_saveexec_b32 s4, s15
	s_cbranch_execz .LBB0_2
; %bb.12:                               ;   in Loop: Header=BB0_3 Depth=1
	ds_load_2addr_b32 v[12:13], v7 offset1:16
	ds_load_2addr_b32 v[14:15], v5 offset1:16
	ds_load_2addr_b32 v[16:17], v7 offset0:32 offset1:48
	ds_load_2addr_b32 v[18:19], v5 offset0:32 offset1:48
	;; [unrolled: 1-line block ×6, first 2 shown]
	s_wait_dscnt 0x6
	v_dual_sub_f32 v11, v12, v14 :: v_dual_sub_f32 v12, v13, v15
	s_wait_dscnt 0x4
	s_delay_alu instid0(VALU_DEP_1)
	v_dual_fmac_f32 v10, v11, v11 :: v_dual_sub_f32 v11, v16, v18
	v_sub_f32_e32 v18, v17, v19
	s_wait_dscnt 0x2
	v_pk_add_f32 v[16:17], v[20:21], v[22:23] neg_lo:[0,1] neg_hi:[0,1]
	s_wait_dscnt 0x0
	v_pk_add_f32 v[22:23], v[24:25], v[26:27] neg_lo:[0,1] neg_hi:[0,1]
	v_fmac_f32_e32 v10, v12, v12
	ds_load_2addr_b32 v[12:13], v7 offset0:128 offset1:144
	ds_load_2addr_b32 v[14:15], v5 offset0:128 offset1:144
	v_pk_mul_f32 v[16:17], v[16:17], v[16:17]
	v_fmac_f32_e32 v10, v11, v11
	s_wait_dscnt 0x0
	v_pk_add_f32 v[12:13], v[12:13], v[14:15] neg_lo:[0,1] neg_hi:[0,1]
	s_delay_alu instid0(VALU_DEP_1) | instskip(NEXT) | instid1(VALU_DEP_3)
	v_pk_mul_f32 v[12:13], v[12:13], v[12:13]
	v_fmac_f32_e32 v10, v18, v18
	ds_load_2addr_b32 v[18:19], v7 offset0:160 offset1:176
	ds_load_2addr_b32 v[20:21], v5 offset0:160 offset1:176
	v_add_f32_e32 v16, v10, v16
	v_pk_mul_f32 v[10:11], v[22:23], v[22:23]
	s_delay_alu instid0(VALU_DEP_2) | instskip(SKIP_3) | instid1(VALU_DEP_1)
	v_add_f32_e32 v24, v16, v17
	ds_load_2addr_b32 v[16:17], v7 offset0:192 offset1:208
	ds_load_2addr_b32 v[22:23], v5 offset0:192 offset1:208
	v_add_f32_e32 v10, v24, v10
	v_add_f32_e32 v24, v10, v11
	ds_load_2addr_b32 v[10:11], v7 offset0:224 offset1:240
	s_wait_dscnt 0x3
	v_pk_add_f32 v[14:15], v[18:19], v[20:21] neg_lo:[0,1] neg_hi:[0,1]
	ds_load_2addr_b32 v[18:19], v5 offset0:224 offset1:240
	v_add_f32_e32 v12, v24, v12
	v_pk_mul_f32 v[14:15], v[14:15], v[14:15]
	s_delay_alu instid0(VALU_DEP_2) | instskip(SKIP_2) | instid1(VALU_DEP_1)
	v_add_f32_e32 v20, v12, v13
	s_wait_dscnt 0x2
	v_pk_add_f32 v[12:13], v[16:17], v[22:23] neg_lo:[0,1] neg_hi:[0,1]
	v_pk_mul_f32 v[12:13], v[12:13], v[12:13]
	s_wait_dscnt 0x0
	v_pk_add_f32 v[10:11], v[10:11], v[18:19] neg_lo:[0,1] neg_hi:[0,1]
	s_delay_alu instid0(VALU_DEP_1) | instskip(SKIP_1) | instid1(VALU_DEP_1)
	v_pk_mul_f32 v[10:11], v[10:11], v[10:11]
	v_add_f32_e32 v14, v20, v14
	v_add_f32_e32 v14, v14, v15
	s_delay_alu instid0(VALU_DEP_1) | instskip(NEXT) | instid1(VALU_DEP_1)
	v_add_f32_e32 v12, v14, v12
	v_add_f32_e32 v12, v12, v13
	s_delay_alu instid0(VALU_DEP_1) | instskip(NEXT) | instid1(VALU_DEP_1)
	v_add_f32_e32 v10, v12, v10
	v_add_f32_e32 v10, v10, v11
	s_branch .LBB0_2
.LBB0_13:
                                        ; implicit-def: $sgpr15
                                        ; implicit-def: $vgpr10
	s_and_b32 vcc_lo, exec_lo, s8
	s_cbranch_vccnz .LBB0_15
	s_branch .LBB0_16
.LBB0_14:
	s_wait_kmcnt 0x0
	s_branch .LBB0_16
.LBB0_15:
	s_and_b32 s2, s3, s2
	v_mov_b32_e32 v10, 0
	s_and_not1_b32 s3, s15, exec_lo
	s_and_b32 s2, s2, exec_lo
	s_delay_alu instid0(SALU_CYCLE_1)
	s_or_b32 s15, s3, s2
.LBB0_16:
	s_delay_alu instid0(SALU_CYCLE_1)
	s_and_saveexec_b32 s2, s15
	s_cbranch_execz .LBB0_18
; %bb.17:
	s_load_b64 s[0:1], s[0:1], 0x20
	v_mad_u32 v0, s6, v1, v0
	s_wait_kmcnt 0x0
	global_store_b32 v0, v10, s[0:1] scale_offset
.LBB0_18:
	s_endpgm
	.section	.rodata,"a",@progbits
	.p2align	6, 0x0
	.amdhsa_kernel _Z23cuComputeDistanceGlobalPKfiS0_iiPf
		.amdhsa_group_segment_fixed_size 2048
		.amdhsa_private_segment_fixed_size 0
		.amdhsa_kernarg_size 40
		.amdhsa_user_sgpr_count 2
		.amdhsa_user_sgpr_dispatch_ptr 0
		.amdhsa_user_sgpr_queue_ptr 0
		.amdhsa_user_sgpr_kernarg_segment_ptr 1
		.amdhsa_user_sgpr_dispatch_id 0
		.amdhsa_user_sgpr_kernarg_preload_length 0
		.amdhsa_user_sgpr_kernarg_preload_offset 0
		.amdhsa_user_sgpr_private_segment_size 0
		.amdhsa_wavefront_size32 1
		.amdhsa_uses_dynamic_stack 0
		.amdhsa_enable_private_segment 0
		.amdhsa_system_sgpr_workgroup_id_x 1
		.amdhsa_system_sgpr_workgroup_id_y 1
		.amdhsa_system_sgpr_workgroup_id_z 0
		.amdhsa_system_sgpr_workgroup_info 0
		.amdhsa_system_vgpr_workitem_id 1
		.amdhsa_next_free_vgpr 28
		.amdhsa_next_free_sgpr 25
		.amdhsa_named_barrier_count 0
		.amdhsa_reserve_vcc 1
		.amdhsa_float_round_mode_32 0
		.amdhsa_float_round_mode_16_64 0
		.amdhsa_float_denorm_mode_32 3
		.amdhsa_float_denorm_mode_16_64 3
		.amdhsa_fp16_overflow 0
		.amdhsa_memory_ordered 1
		.amdhsa_forward_progress 1
		.amdhsa_inst_pref_size 9
		.amdhsa_round_robin_scheduling 0
		.amdhsa_exception_fp_ieee_invalid_op 0
		.amdhsa_exception_fp_denorm_src 0
		.amdhsa_exception_fp_ieee_div_zero 0
		.amdhsa_exception_fp_ieee_overflow 0
		.amdhsa_exception_fp_ieee_underflow 0
		.amdhsa_exception_fp_ieee_inexact 0
		.amdhsa_exception_int_div_zero 0
	.end_amdhsa_kernel
	.text
.Lfunc_end0:
	.size	_Z23cuComputeDistanceGlobalPKfiS0_iiPf, .Lfunc_end0-_Z23cuComputeDistanceGlobalPKfiS0_iiPf
                                        ; -- End function
	.set _Z23cuComputeDistanceGlobalPKfiS0_iiPf.num_vgpr, 28
	.set _Z23cuComputeDistanceGlobalPKfiS0_iiPf.num_agpr, 0
	.set _Z23cuComputeDistanceGlobalPKfiS0_iiPf.numbered_sgpr, 25
	.set _Z23cuComputeDistanceGlobalPKfiS0_iiPf.num_named_barrier, 0
	.set _Z23cuComputeDistanceGlobalPKfiS0_iiPf.private_seg_size, 0
	.set _Z23cuComputeDistanceGlobalPKfiS0_iiPf.uses_vcc, 1
	.set _Z23cuComputeDistanceGlobalPKfiS0_iiPf.uses_flat_scratch, 0
	.set _Z23cuComputeDistanceGlobalPKfiS0_iiPf.has_dyn_sized_stack, 0
	.set _Z23cuComputeDistanceGlobalPKfiS0_iiPf.has_recursion, 0
	.set _Z23cuComputeDistanceGlobalPKfiS0_iiPf.has_indirect_call, 0
	.section	.AMDGPU.csdata,"",@progbits
; Kernel info:
; codeLenInByte = 1104
; TotalNumSgprs: 27
; NumVgprs: 28
; ScratchSize: 0
; MemoryBound: 0
; FloatMode: 240
; IeeeMode: 1
; LDSByteSize: 2048 bytes/workgroup (compile time only)
; SGPRBlocks: 0
; VGPRBlocks: 1
; NumSGPRsForWavesPerEU: 27
; NumVGPRsForWavesPerEU: 28
; NamedBarCnt: 0
; Occupancy: 16
; WaveLimiterHint : 0
; COMPUTE_PGM_RSRC2:SCRATCH_EN: 0
; COMPUTE_PGM_RSRC2:USER_SGPR: 2
; COMPUTE_PGM_RSRC2:TRAP_HANDLER: 0
; COMPUTE_PGM_RSRC2:TGID_X_EN: 1
; COMPUTE_PGM_RSRC2:TGID_Y_EN: 1
; COMPUTE_PGM_RSRC2:TGID_Z_EN: 0
; COMPUTE_PGM_RSRC2:TIDIG_COMP_CNT: 1
	.text
	.protected	_Z15cuInsertionSortPfPiiii ; -- Begin function _Z15cuInsertionSortPfPiiii
	.globl	_Z15cuInsertionSortPfPiiii
	.p2align	8
	.type	_Z15cuInsertionSortPfPiiii,@function
_Z15cuInsertionSortPfPiiii:             ; @_Z15cuInsertionSortPfPiiii
; %bb.0:
	s_clause 0x1
	s_load_b32 s2, s[0:1], 0x2c
	s_load_b96 s[4:6], s[0:1], 0x10
	s_bfe_u32 s3, ttmp6, 0x4000c
	s_and_b32 s7, ttmp6, 15
	s_add_co_i32 s3, s3, 1
	s_getreg_b32 s8, hwreg(HW_REG_IB_STS2, 6, 4)
	s_mul_i32 s3, ttmp9, s3
	s_delay_alu instid0(SALU_CYCLE_1) | instskip(SKIP_4) | instid1(SALU_CYCLE_1)
	s_add_co_i32 s7, s7, s3
	s_wait_kmcnt 0x0
	s_and_b32 s2, s2, 0xffff
	s_cmp_eq_u32 s8, 0
	s_cselect_b32 s3, ttmp9, s7
	v_mad_u32 v4, s3, s2, v0
	s_mov_b32 s2, exec_lo
	s_delay_alu instid0(VALU_DEP_1)
	v_cmpx_gt_u32_e64 s4, v4
	s_cbranch_execz .LBB1_33
; %bb.1:
	s_load_b128 s[0:3], s[0:1], 0x0
	v_mov_b32_e32 v5, 0
	s_cmp_gt_i32 s6, 1
	s_cselect_b32 s7, -1, 0
	s_add_co_i32 s8, s6, -1
	s_delay_alu instid0(VALU_DEP_1)
	v_lshlrev_b64_e32 v[2:3], 2, v[4:5]
	s_cmp_lt_i32 s6, 2
	s_wait_kmcnt 0x0
	global_load_b32 v6, v4, s[0:1] scale_offset
	v_add_nc_u64_e32 v[0:1], s[0:1], v[2:3]
	v_add_nc_u64_e32 v[2:3], s[2:3], v[2:3]
	global_store_b32 v4, v5, s[2:3] scale_offset
	s_cbranch_scc1 .LBB1_18
; %bb.2:
	s_wait_xcnt 0x1
	s_ashr_i32 s1, s4, 31
	s_mov_b32 s0, s4
	s_mov_b32 s9, 1
	s_lshl_b64 s[0:1], s[0:1], 2
	s_mov_b32 s10, 0
	s_mov_b32 s11, 0
.LBB1_3:                                ; =>This Loop Header: Depth=1
                                        ;     Child Loop BB1_9 Depth 2
                                        ;     Child Loop BB1_14 Depth 2
	s_wait_xcnt 0x0
	s_mul_i32 s2, s9, s4
	s_mov_b32 s12, exec_lo
	s_ashr_i32 s3, s2, 31
	s_delay_alu instid0(SALU_CYCLE_1)
	v_lshl_add_u64 v[4:5], s[2:3], 2, v[0:1]
	global_load_b32 v8, v[4:5], off
	s_wait_loadcnt 0x0
	v_cmpx_nlt_f32_e32 v8, v6
	s_xor_b32 s12, exec_lo, s12
	s_cbranch_execz .LBB1_5
; %bb.4:                                ;   in Loop: Header=BB1_3 Depth=1
	v_lshl_add_u64 v[4:5], s[2:3], 2, v[2:3]
	v_mov_b32_e32 v6, s9
	global_store_b32 v[4:5], v6, off
                                        ; implicit-def: $vgpr4_vgpr5
.LBB1_5:                                ;   in Loop: Header=BB1_3 Depth=1
	s_wait_xcnt 0x0
	s_and_not1_saveexec_b32 s12, s12
	s_cbranch_execz .LBB1_16
; %bb.6:                                ;   in Loop: Header=BB1_3 Depth=1
	s_add_co_i32 s2, s9, -1
	s_cmp_lt_u32 s9, 2
	v_mov_b32_e32 v9, s2
	s_cbranch_scc1 .LBB1_12
; %bb.7:                                ;   in Loop: Header=BB1_3 Depth=1
	v_mov_b64_e32 v[6:7], v[0:1]
	s_mov_b32 s3, 0
	s_mov_b32 s13, 0
                                        ; implicit-def: $sgpr14
	s_branch .LBB1_9
.LBB1_8:                                ;   in Loop: Header=BB1_9 Depth=2
	s_or_b32 exec_lo, exec_lo, s15
	s_delay_alu instid0(SALU_CYCLE_1) | instskip(NEXT) | instid1(SALU_CYCLE_1)
	s_and_b32 s15, exec_lo, s14
	s_or_b32 s3, s15, s3
	s_delay_alu instid0(SALU_CYCLE_1)
	s_and_not1_b32 exec_lo, exec_lo, s3
	s_cbranch_execz .LBB1_11
.LBB1_9:                                ;   Parent Loop BB1_3 Depth=1
                                        ; =>  This Inner Loop Header: Depth=2
	global_load_b32 v9, v[6:7], off
	s_or_b32 s14, s14, exec_lo
	s_wait_loadcnt 0x0
	v_cmp_ngt_f32_e32 vcc_lo, v9, v8
	v_mov_b32_e32 v9, s13
	s_wait_xcnt 0x0
	s_and_saveexec_b32 s15, vcc_lo
	s_cbranch_execz .LBB1_8
; %bb.10:                               ;   in Loop: Header=BB1_9 Depth=2
	s_add_co_i32 s13, s13, 1
	v_add_nc_u64_e32 v[6:7], s[0:1], v[6:7]
	s_cmp_eq_u32 s11, s13
	v_mov_b32_e32 v9, s2
	s_cselect_b32 s16, -1, 0
	s_and_not1_b32 s14, s14, exec_lo
	s_and_b32 s16, s16, exec_lo
	s_delay_alu instid0(SALU_CYCLE_1)
	s_or_b32 s14, s14, s16
	s_branch .LBB1_8
.LBB1_11:                               ;   in Loop: Header=BB1_3 Depth=1
	s_or_b32 exec_lo, exec_lo, s3
.LBB1_12:                               ;   in Loop: Header=BB1_3 Depth=1
	s_delay_alu instid0(SALU_CYCLE_1) | instskip(NEXT) | instid1(VALU_DEP_1)
	s_mov_b32 s13, exec_lo
	v_cmpx_gt_u32_e64 s9, v9
	s_cbranch_execz .LBB1_15
; %bb.13:                               ;   in Loop: Header=BB1_3 Depth=1
	s_mov_b32 s14, 0
	s_mov_b32 s2, s10
	;; [unrolled: 1-line block ×3, first 2 shown]
.LBB1_14:                               ;   Parent Loop BB1_3 Depth=1
                                        ; =>  This Inner Loop Header: Depth=2
	s_ashr_i32 s3, s2, 31
	s_add_co_i32 s15, s15, -1
	s_lshl_b64 s[16:17], s[2:3], 2
	v_cmp_le_i32_e32 vcc_lo, s15, v9
	v_add_nc_u64_e32 v[6:7], s[16:17], v[0:1]
	v_add_nc_u64_e32 v[10:11], s[16:17], v[2:3]
	s_add_co_i32 s16, s4, s2
	s_sub_co_i32 s2, s2, s4
	s_ashr_i32 s17, s16, 31
	global_load_b32 v12, v[6:7], off
	global_load_b32 v13, v[10:11], off
	s_lshl_b64 s[16:17], s[16:17], 2
	s_or_b32 s14, vcc_lo, s14
	s_wait_xcnt 0x1
	v_add_nc_u64_e32 v[6:7], s[16:17], v[0:1]
	s_wait_xcnt 0x0
	v_add_nc_u64_e32 v[10:11], s[16:17], v[2:3]
	s_wait_loadcnt 0x1
	global_store_b32 v[6:7], v12, off
	s_wait_loadcnt 0x0
	global_store_b32 v[10:11], v13, off
	s_wait_xcnt 0x0
	s_and_not1_b32 exec_lo, exec_lo, s14
	s_cbranch_execnz .LBB1_14
.LBB1_15:                               ;   in Loop: Header=BB1_3 Depth=1
	s_or_b32 exec_lo, exec_lo, s13
	v_mul_lo_u32 v6, v9, s4
	s_delay_alu instid0(VALU_DEP_1) | instskip(NEXT) | instid1(VALU_DEP_1)
	v_ashrrev_i32_e32 v7, 31, v6
	v_lshlrev_b64_e32 v[6:7], 2, v[6:7]
	s_delay_alu instid0(VALU_DEP_1)
	v_add_nc_u64_e32 v[10:11], v[0:1], v[6:7]
	s_clause 0x1
	global_store_b32 v[10:11], v8, off
	global_load_b32 v8, v[4:5], off
	s_wait_xcnt 0x0
	v_add_nc_u64_e32 v[4:5], v[2:3], v[6:7]
	v_mov_b32_e32 v6, s9
	global_store_b32 v[4:5], v6, off
.LBB1_16:                               ;   in Loop: Header=BB1_3 Depth=1
	s_wait_xcnt 0x0
	s_or_b32 exec_lo, exec_lo, s12
	s_add_co_i32 s11, s11, 1
	s_add_co_i32 s9, s9, 1
	;; [unrolled: 1-line block ×3, first 2 shown]
	s_cmp_lg_u32 s11, s8
	s_cbranch_scc0 .LBB1_19
; %bb.17:                               ;   in Loop: Header=BB1_3 Depth=1
	s_wait_loadcnt 0x0
	v_mov_b32_e32 v6, v8
	s_branch .LBB1_3
.LBB1_18:
	s_wait_loadcnt 0x0
	v_mov_b32_e32 v8, v6
.LBB1_19:
	s_cmp_ge_i32 s6, s5
	s_cbranch_scc1 .LBB1_33
; %bb.20:
	s_wait_xcnt 0x1
	s_mul_i32 s0, s8, s4
	s_wait_xcnt 0x0
	s_ashr_i32 s3, s4, 31
	s_ashr_i32 s1, s0, 31
	s_mov_b32 s2, s4
	v_lshl_add_u64 v[4:5], s[0:1], 2, v[0:1]
	s_add_co_i32 s1, s6, -2
	s_lshl_b64 s[2:3], s[2:3], 2
	s_mul_i32 s1, s4, s1
	s_branch .LBB1_23
.LBB1_21:                               ;   in Loop: Header=BB1_23 Depth=1
	s_or_b32 exec_lo, exec_lo, s10
	v_mul_lo_u32 v6, v8, s4
	s_delay_alu instid0(VALU_DEP_1) | instskip(NEXT) | instid1(VALU_DEP_1)
	v_ashrrev_i32_e32 v7, 31, v6
	v_lshlrev_b64_e32 v[6:7], 2, v[6:7]
	s_delay_alu instid0(VALU_DEP_1)
	v_add_nc_u64_e32 v[10:11], v[0:1], v[6:7]
	v_add_nc_u64_e32 v[6:7], v[2:3], v[6:7]
	s_clause 0x1
	global_store_b32 v[10:11], v9, off
	global_load_b32 v8, v[4:5], off
	s_wait_xcnt 0x1
	v_mov_b32_e32 v9, s6
	global_store_b32 v[6:7], v9, off
.LBB1_22:                               ;   in Loop: Header=BB1_23 Depth=1
	s_wait_xcnt 0x0
	s_or_b32 exec_lo, exec_lo, s9
	s_add_co_i32 s6, s6, 1
	s_delay_alu instid0(SALU_CYCLE_1)
	s_cmp_lt_i32 s6, s5
	s_cbranch_scc0 .LBB1_33
.LBB1_23:                               ; =>This Loop Header: Depth=1
                                        ;     Child Loop BB1_27 Depth 2
                                        ;     Child Loop BB1_32 Depth 2
	s_mul_i32 s10, s6, s4
	s_mov_b32 s9, exec_lo
	s_ashr_i32 s11, s10, 31
	s_delay_alu instid0(SALU_CYCLE_1)
	v_lshl_add_u64 v[6:7], s[10:11], 2, v[0:1]
	global_load_b32 v9, v[6:7], off
	s_wait_loadcnt 0x0
	v_cmpx_lt_f32_e32 v9, v8
	s_cbranch_execz .LBB1_22
; %bb.24:                               ;   in Loop: Header=BB1_23 Depth=1
	v_mov_b32_e32 v8, s8
	s_and_not1_b32 vcc_lo, exec_lo, s7
	s_cbranch_vccnz .LBB1_30
; %bb.25:                               ;   in Loop: Header=BB1_23 Depth=1
	v_mov_b64_e32 v[6:7], v[0:1]
	s_mov_b32 s10, 0
	s_mov_b32 s11, 0
                                        ; implicit-def: $sgpr12
	s_branch .LBB1_27
.LBB1_26:                               ;   in Loop: Header=BB1_27 Depth=2
	s_or_b32 exec_lo, exec_lo, s13
	s_delay_alu instid0(SALU_CYCLE_1) | instskip(NEXT) | instid1(SALU_CYCLE_1)
	s_and_b32 s13, exec_lo, s12
	s_or_b32 s10, s13, s10
	s_delay_alu instid0(SALU_CYCLE_1)
	s_and_not1_b32 exec_lo, exec_lo, s10
	s_cbranch_execz .LBB1_29
.LBB1_27:                               ;   Parent Loop BB1_23 Depth=1
                                        ; =>  This Inner Loop Header: Depth=2
	global_load_b32 v8, v[6:7], off
	s_or_b32 s12, s12, exec_lo
	s_wait_loadcnt 0x0
	v_cmp_ngt_f32_e32 vcc_lo, v8, v9
	v_mov_b32_e32 v8, s11
	s_wait_xcnt 0x0
	s_and_saveexec_b32 s13, vcc_lo
	s_cbranch_execz .LBB1_26
; %bb.28:                               ;   in Loop: Header=BB1_27 Depth=2
	s_add_co_i32 s11, s11, 1
	v_add_nc_u64_e32 v[6:7], s[2:3], v[6:7]
	s_cmp_eq_u32 s8, s11
	v_mov_b32_e32 v8, s8
	s_cselect_b32 s14, -1, 0
	s_and_not1_b32 s12, s12, exec_lo
	s_and_b32 s14, s14, exec_lo
	s_delay_alu instid0(SALU_CYCLE_1)
	s_or_b32 s12, s12, s14
	s_branch .LBB1_26
.LBB1_29:                               ;   in Loop: Header=BB1_23 Depth=1
	s_or_b32 exec_lo, exec_lo, s10
.LBB1_30:                               ;   in Loop: Header=BB1_23 Depth=1
	s_delay_alu instid0(SALU_CYCLE_1) | instskip(NEXT) | instid1(VALU_DEP_1)
	s_mov_b32 s10, exec_lo
	v_cmpx_gt_i32_e64 s8, v8
	s_cbranch_execz .LBB1_21
; %bb.31:                               ;   in Loop: Header=BB1_23 Depth=1
	s_mov_b32 s11, 0
	s_mov_b32 s12, 0
	;; [unrolled: 1-line block ×3, first 2 shown]
.LBB1_32:                               ;   Parent Loop BB1_23 Depth=1
                                        ; =>  This Inner Loop Header: Depth=2
	s_add_co_i32 s14, s1, s12
	s_add_co_i32 s13, s13, -1
	s_ashr_i32 s15, s14, 31
	v_cmp_le_i32_e32 vcc_lo, s13, v8
	s_lshl_b64 s[14:15], s[14:15], 2
	s_delay_alu instid0(SALU_CYCLE_1)
	v_add_nc_u64_e32 v[6:7], s[14:15], v[0:1]
	v_add_nc_u64_e32 v[10:11], s[14:15], v[2:3]
	s_add_co_i32 s14, s0, s12
	s_sub_co_i32 s12, s12, s4
	s_ashr_i32 s15, s14, 31
	global_load_b32 v12, v[6:7], off
	global_load_b32 v13, v[10:11], off
	s_lshl_b64 s[14:15], s[14:15], 2
	s_or_b32 s11, vcc_lo, s11
	s_wait_xcnt 0x1
	v_add_nc_u64_e32 v[6:7], s[14:15], v[0:1]
	s_wait_xcnt 0x0
	v_add_nc_u64_e32 v[10:11], s[14:15], v[2:3]
	s_wait_loadcnt 0x1
	global_store_b32 v[6:7], v12, off
	s_wait_loadcnt 0x0
	global_store_b32 v[10:11], v13, off
	s_wait_xcnt 0x0
	s_and_not1_b32 exec_lo, exec_lo, s11
	s_cbranch_execnz .LBB1_32
	s_branch .LBB1_21
.LBB1_33:
	s_endpgm
	.section	.rodata,"a",@progbits
	.p2align	6, 0x0
	.amdhsa_kernel _Z15cuInsertionSortPfPiiii
		.amdhsa_group_segment_fixed_size 0
		.amdhsa_private_segment_fixed_size 0
		.amdhsa_kernarg_size 288
		.amdhsa_user_sgpr_count 2
		.amdhsa_user_sgpr_dispatch_ptr 0
		.amdhsa_user_sgpr_queue_ptr 0
		.amdhsa_user_sgpr_kernarg_segment_ptr 1
		.amdhsa_user_sgpr_dispatch_id 0
		.amdhsa_user_sgpr_kernarg_preload_length 0
		.amdhsa_user_sgpr_kernarg_preload_offset 0
		.amdhsa_user_sgpr_private_segment_size 0
		.amdhsa_wavefront_size32 1
		.amdhsa_uses_dynamic_stack 0
		.amdhsa_enable_private_segment 0
		.amdhsa_system_sgpr_workgroup_id_x 1
		.amdhsa_system_sgpr_workgroup_id_y 0
		.amdhsa_system_sgpr_workgroup_id_z 0
		.amdhsa_system_sgpr_workgroup_info 0
		.amdhsa_system_vgpr_workitem_id 0
		.amdhsa_next_free_vgpr 14
		.amdhsa_next_free_sgpr 18
		.amdhsa_named_barrier_count 0
		.amdhsa_reserve_vcc 1
		.amdhsa_float_round_mode_32 0
		.amdhsa_float_round_mode_16_64 0
		.amdhsa_float_denorm_mode_32 3
		.amdhsa_float_denorm_mode_16_64 3
		.amdhsa_fp16_overflow 0
		.amdhsa_memory_ordered 1
		.amdhsa_forward_progress 1
		.amdhsa_inst_pref_size 10
		.amdhsa_round_robin_scheduling 0
		.amdhsa_exception_fp_ieee_invalid_op 0
		.amdhsa_exception_fp_denorm_src 0
		.amdhsa_exception_fp_ieee_div_zero 0
		.amdhsa_exception_fp_ieee_overflow 0
		.amdhsa_exception_fp_ieee_underflow 0
		.amdhsa_exception_fp_ieee_inexact 0
		.amdhsa_exception_int_div_zero 0
	.end_amdhsa_kernel
	.text
.Lfunc_end1:
	.size	_Z15cuInsertionSortPfPiiii, .Lfunc_end1-_Z15cuInsertionSortPfPiiii
                                        ; -- End function
	.set _Z15cuInsertionSortPfPiiii.num_vgpr, 14
	.set _Z15cuInsertionSortPfPiiii.num_agpr, 0
	.set _Z15cuInsertionSortPfPiiii.numbered_sgpr, 18
	.set _Z15cuInsertionSortPfPiiii.num_named_barrier, 0
	.set _Z15cuInsertionSortPfPiiii.private_seg_size, 0
	.set _Z15cuInsertionSortPfPiiii.uses_vcc, 1
	.set _Z15cuInsertionSortPfPiiii.uses_flat_scratch, 0
	.set _Z15cuInsertionSortPfPiiii.has_dyn_sized_stack, 0
	.set _Z15cuInsertionSortPfPiiii.has_recursion, 0
	.set _Z15cuInsertionSortPfPiiii.has_indirect_call, 0
	.section	.AMDGPU.csdata,"",@progbits
; Kernel info:
; codeLenInByte = 1260
; TotalNumSgprs: 20
; NumVgprs: 14
; ScratchSize: 0
; MemoryBound: 0
; FloatMode: 240
; IeeeMode: 1
; LDSByteSize: 0 bytes/workgroup (compile time only)
; SGPRBlocks: 0
; VGPRBlocks: 0
; NumSGPRsForWavesPerEU: 20
; NumVGPRsForWavesPerEU: 14
; NamedBarCnt: 0
; Occupancy: 16
; WaveLimiterHint : 0
; COMPUTE_PGM_RSRC2:SCRATCH_EN: 0
; COMPUTE_PGM_RSRC2:USER_SGPR: 2
; COMPUTE_PGM_RSRC2:TRAP_HANDLER: 0
; COMPUTE_PGM_RSRC2:TGID_X_EN: 1
; COMPUTE_PGM_RSRC2:TGID_Y_EN: 0
; COMPUTE_PGM_RSRC2:TGID_Z_EN: 0
; COMPUTE_PGM_RSRC2:TIDIG_COMP_CNT: 0
	.text
	.protected	_Z14cuParallelSqrtPfii  ; -- Begin function _Z14cuParallelSqrtPfii
	.globl	_Z14cuParallelSqrtPfii
	.p2align	8
	.type	_Z14cuParallelSqrtPfii,@function
_Z14cuParallelSqrtPfii:                 ; @_Z14cuParallelSqrtPfii
; %bb.0:
	s_clause 0x1
	s_load_b32 s2, s[0:1], 0x1c
	s_load_b64 s[4:5], s[0:1], 0x8
	s_bfe_u32 s6, ttmp6, 0x4000c
	s_bfe_u32 s7, ttmp6, 0x40010
	s_add_co_i32 s6, s6, 1
	s_add_co_i32 s7, s7, 1
	s_and_b32 s3, ttmp6, 15
	s_bfe_u32 s8, ttmp6, 0x40004
	s_mul_i32 s6, ttmp9, s6
	s_mul_i32 s7, ttmp7, s7
	s_getreg_b32 s9, hwreg(HW_REG_IB_STS2, 6, 4)
	v_and_b32_e32 v1, 0x3ff, v0
	v_bfe_u32 v2, v0, 10, 10
	s_add_co_i32 s3, s3, s6
	s_add_co_i32 s8, s8, s7
	s_wait_kmcnt 0x0
	s_lshr_b32 s6, s2, 16
	s_and_b32 s2, s2, 0xffff
	s_cmp_eq_u32 s9, 0
	s_cselect_b32 s3, ttmp9, s3
	s_cselect_b32 s7, ttmp7, s8
	v_mad_u32 v0, s3, s2, v1
	v_mad_u32 v1, s7, s6, v2
	s_delay_alu instid0(VALU_DEP_2) | instskip(NEXT) | instid1(VALU_DEP_2)
	v_cmp_gt_u32_e32 vcc_lo, s4, v0
	v_cmp_gt_u32_e64 s2, s5, v1
	s_and_b32 s2, vcc_lo, s2
	s_delay_alu instid0(SALU_CYCLE_1)
	s_and_saveexec_b32 s3, s2
	s_cbranch_execz .LBB2_2
; %bb.1:
	s_load_b64 s[2:3], s[0:1], 0x0
	v_mad_u32 v0, v1, s4, v0
	s_wait_kmcnt 0x0
	global_load_b32 v1, v0, s[2:3] scale_offset
	s_wait_loadcnt 0x0
	v_mul_f32_e32 v2, 0x4f800000, v1
	v_cmp_gt_f32_e32 vcc_lo, 0xf800000, v1
	s_delay_alu instid0(VALU_DEP_2) | instskip(NEXT) | instid1(VALU_DEP_1)
	v_cndmask_b32_e32 v1, v1, v2, vcc_lo
	v_sqrt_f32_e32 v2, v1
	v_nop
	s_delay_alu instid0(TRANS32_DEP_1) | instskip(NEXT) | instid1(VALU_DEP_1)
	v_dual_add_nc_u32 v3, -1, v2 :: v_dual_add_nc_u32 v4, 1, v2
	v_fma_f32 v5, -v3, v2, v1
	s_delay_alu instid0(VALU_DEP_1) | instskip(NEXT) | instid1(VALU_DEP_1)
	v_cmp_ge_f32_e64 s0, 0, v5
	v_dual_fma_f32 v6, -v4, v2, v1 :: v_dual_cndmask_b32 v2, v2, v3, s0
	s_delay_alu instid0(VALU_DEP_1) | instskip(NEXT) | instid1(VALU_DEP_1)
	v_cmp_lt_f32_e64 s0, 0, v6
	v_cndmask_b32_e64 v2, v2, v4, s0
	s_delay_alu instid0(VALU_DEP_1) | instskip(NEXT) | instid1(VALU_DEP_1)
	v_mul_f32_e32 v3, 0x37800000, v2
	v_cndmask_b32_e32 v2, v2, v3, vcc_lo
	v_cmp_class_f32_e64 vcc_lo, v1, 0x260
	s_delay_alu instid0(VALU_DEP_2)
	v_cndmask_b32_e32 v1, v2, v1, vcc_lo
	global_store_b32 v0, v1, s[2:3] scale_offset
.LBB2_2:
	s_endpgm
	.section	.rodata,"a",@progbits
	.p2align	6, 0x0
	.amdhsa_kernel _Z14cuParallelSqrtPfii
		.amdhsa_group_segment_fixed_size 0
		.amdhsa_private_segment_fixed_size 0
		.amdhsa_kernarg_size 272
		.amdhsa_user_sgpr_count 2
		.amdhsa_user_sgpr_dispatch_ptr 0
		.amdhsa_user_sgpr_queue_ptr 0
		.amdhsa_user_sgpr_kernarg_segment_ptr 1
		.amdhsa_user_sgpr_dispatch_id 0
		.amdhsa_user_sgpr_kernarg_preload_length 0
		.amdhsa_user_sgpr_kernarg_preload_offset 0
		.amdhsa_user_sgpr_private_segment_size 0
		.amdhsa_wavefront_size32 1
		.amdhsa_uses_dynamic_stack 0
		.amdhsa_enable_private_segment 0
		.amdhsa_system_sgpr_workgroup_id_x 1
		.amdhsa_system_sgpr_workgroup_id_y 1
		.amdhsa_system_sgpr_workgroup_id_z 0
		.amdhsa_system_sgpr_workgroup_info 0
		.amdhsa_system_vgpr_workitem_id 1
		.amdhsa_next_free_vgpr 7
		.amdhsa_next_free_sgpr 10
		.amdhsa_named_barrier_count 0
		.amdhsa_reserve_vcc 1
		.amdhsa_float_round_mode_32 0
		.amdhsa_float_round_mode_16_64 0
		.amdhsa_float_denorm_mode_32 3
		.amdhsa_float_denorm_mode_16_64 3
		.amdhsa_fp16_overflow 0
		.amdhsa_memory_ordered 1
		.amdhsa_forward_progress 1
		.amdhsa_inst_pref_size 3
		.amdhsa_round_robin_scheduling 0
		.amdhsa_exception_fp_ieee_invalid_op 0
		.amdhsa_exception_fp_denorm_src 0
		.amdhsa_exception_fp_ieee_div_zero 0
		.amdhsa_exception_fp_ieee_overflow 0
		.amdhsa_exception_fp_ieee_underflow 0
		.amdhsa_exception_fp_ieee_inexact 0
		.amdhsa_exception_int_div_zero 0
	.end_amdhsa_kernel
	.text
.Lfunc_end2:
	.size	_Z14cuParallelSqrtPfii, .Lfunc_end2-_Z14cuParallelSqrtPfii
                                        ; -- End function
	.set _Z14cuParallelSqrtPfii.num_vgpr, 7
	.set _Z14cuParallelSqrtPfii.num_agpr, 0
	.set _Z14cuParallelSqrtPfii.numbered_sgpr, 10
	.set _Z14cuParallelSqrtPfii.num_named_barrier, 0
	.set _Z14cuParallelSqrtPfii.private_seg_size, 0
	.set _Z14cuParallelSqrtPfii.uses_vcc, 1
	.set _Z14cuParallelSqrtPfii.uses_flat_scratch, 0
	.set _Z14cuParallelSqrtPfii.has_dyn_sized_stack, 0
	.set _Z14cuParallelSqrtPfii.has_recursion, 0
	.set _Z14cuParallelSqrtPfii.has_indirect_call, 0
	.section	.AMDGPU.csdata,"",@progbits
; Kernel info:
; codeLenInByte = 356
; TotalNumSgprs: 12
; NumVgprs: 7
; ScratchSize: 0
; MemoryBound: 0
; FloatMode: 240
; IeeeMode: 1
; LDSByteSize: 0 bytes/workgroup (compile time only)
; SGPRBlocks: 0
; VGPRBlocks: 0
; NumSGPRsForWavesPerEU: 12
; NumVGPRsForWavesPerEU: 7
; NamedBarCnt: 0
; Occupancy: 16
; WaveLimiterHint : 0
; COMPUTE_PGM_RSRC2:SCRATCH_EN: 0
; COMPUTE_PGM_RSRC2:USER_SGPR: 2
; COMPUTE_PGM_RSRC2:TRAP_HANDLER: 0
; COMPUTE_PGM_RSRC2:TGID_X_EN: 1
; COMPUTE_PGM_RSRC2:TGID_Y_EN: 1
; COMPUTE_PGM_RSRC2:TGID_Z_EN: 0
; COMPUTE_PGM_RSRC2:TIDIG_COMP_CNT: 1
	.text
	.p2alignl 7, 3214868480
	.fill 96, 4, 3214868480
	.section	.AMDGPU.gpr_maximums,"",@progbits
	.set amdgpu.max_num_vgpr, 0
	.set amdgpu.max_num_agpr, 0
	.set amdgpu.max_num_sgpr, 0
	.text
	.type	__hip_cuid_9eedd3cfce282125,@object ; @__hip_cuid_9eedd3cfce282125
	.section	.bss,"aw",@nobits
	.globl	__hip_cuid_9eedd3cfce282125
__hip_cuid_9eedd3cfce282125:
	.byte	0                               ; 0x0
	.size	__hip_cuid_9eedd3cfce282125, 1

	.ident	"AMD clang version 22.0.0git (https://github.com/RadeonOpenCompute/llvm-project roc-7.2.4 26084 f58b06dce1f9c15707c5f808fd002e18c2accf7e)"
	.section	".note.GNU-stack","",@progbits
	.addrsig
	.addrsig_sym __hip_cuid_9eedd3cfce282125
	.amdgpu_metadata
---
amdhsa.kernels:
  - .args:
      - .actual_access:  read_only
        .address_space:  global
        .offset:         0
        .size:           8
        .value_kind:     global_buffer
      - .offset:         8
        .size:           4
        .value_kind:     by_value
      - .actual_access:  read_only
        .address_space:  global
        .offset:         16
        .size:           8
        .value_kind:     global_buffer
      - .offset:         24
        .size:           4
        .value_kind:     by_value
      - .offset:         28
        .size:           4
        .value_kind:     by_value
      - .actual_access:  write_only
        .address_space:  global
        .offset:         32
        .size:           8
        .value_kind:     global_buffer
    .group_segment_fixed_size: 2048
    .kernarg_segment_align: 8
    .kernarg_segment_size: 40
    .language:       OpenCL C
    .language_version:
      - 2
      - 0
    .max_flat_workgroup_size: 1024
    .name:           _Z23cuComputeDistanceGlobalPKfiS0_iiPf
    .private_segment_fixed_size: 0
    .sgpr_count:     27
    .sgpr_spill_count: 0
    .symbol:         _Z23cuComputeDistanceGlobalPKfiS0_iiPf.kd
    .uniform_work_group_size: 1
    .uses_dynamic_stack: false
    .vgpr_count:     28
    .vgpr_spill_count: 0
    .wavefront_size: 32
  - .args:
      - .address_space:  global
        .offset:         0
        .size:           8
        .value_kind:     global_buffer
      - .address_space:  global
        .offset:         8
        .size:           8
        .value_kind:     global_buffer
      - .offset:         16
        .size:           4
        .value_kind:     by_value
      - .offset:         20
        .size:           4
        .value_kind:     by_value
      - .offset:         24
        .size:           4
        .value_kind:     by_value
      - .offset:         32
        .size:           4
        .value_kind:     hidden_block_count_x
      - .offset:         36
        .size:           4
        .value_kind:     hidden_block_count_y
      - .offset:         40
        .size:           4
        .value_kind:     hidden_block_count_z
      - .offset:         44
        .size:           2
        .value_kind:     hidden_group_size_x
      - .offset:         46
        .size:           2
        .value_kind:     hidden_group_size_y
      - .offset:         48
        .size:           2
        .value_kind:     hidden_group_size_z
      - .offset:         50
        .size:           2
        .value_kind:     hidden_remainder_x
      - .offset:         52
        .size:           2
        .value_kind:     hidden_remainder_y
      - .offset:         54
        .size:           2
        .value_kind:     hidden_remainder_z
      - .offset:         72
        .size:           8
        .value_kind:     hidden_global_offset_x
      - .offset:         80
        .size:           8
        .value_kind:     hidden_global_offset_y
      - .offset:         88
        .size:           8
        .value_kind:     hidden_global_offset_z
      - .offset:         96
        .size:           2
        .value_kind:     hidden_grid_dims
    .group_segment_fixed_size: 0
    .kernarg_segment_align: 8
    .kernarg_segment_size: 288
    .language:       OpenCL C
    .language_version:
      - 2
      - 0
    .max_flat_workgroup_size: 1024
    .name:           _Z15cuInsertionSortPfPiiii
    .private_segment_fixed_size: 0
    .sgpr_count:     20
    .sgpr_spill_count: 0
    .symbol:         _Z15cuInsertionSortPfPiiii.kd
    .uniform_work_group_size: 1
    .uses_dynamic_stack: false
    .vgpr_count:     14
    .vgpr_spill_count: 0
    .wavefront_size: 32
  - .args:
      - .address_space:  global
        .offset:         0
        .size:           8
        .value_kind:     global_buffer
      - .offset:         8
        .size:           4
        .value_kind:     by_value
      - .offset:         12
        .size:           4
        .value_kind:     by_value
      - .offset:         16
        .size:           4
        .value_kind:     hidden_block_count_x
      - .offset:         20
        .size:           4
        .value_kind:     hidden_block_count_y
      - .offset:         24
        .size:           4
        .value_kind:     hidden_block_count_z
      - .offset:         28
        .size:           2
        .value_kind:     hidden_group_size_x
      - .offset:         30
        .size:           2
        .value_kind:     hidden_group_size_y
      - .offset:         32
        .size:           2
        .value_kind:     hidden_group_size_z
      - .offset:         34
        .size:           2
        .value_kind:     hidden_remainder_x
      - .offset:         36
        .size:           2
        .value_kind:     hidden_remainder_y
      - .offset:         38
        .size:           2
        .value_kind:     hidden_remainder_z
      - .offset:         56
        .size:           8
        .value_kind:     hidden_global_offset_x
      - .offset:         64
        .size:           8
        .value_kind:     hidden_global_offset_y
      - .offset:         72
        .size:           8
        .value_kind:     hidden_global_offset_z
      - .offset:         80
        .size:           2
        .value_kind:     hidden_grid_dims
    .group_segment_fixed_size: 0
    .kernarg_segment_align: 8
    .kernarg_segment_size: 272
    .language:       OpenCL C
    .language_version:
      - 2
      - 0
    .max_flat_workgroup_size: 1024
    .name:           _Z14cuParallelSqrtPfii
    .private_segment_fixed_size: 0
    .sgpr_count:     12
    .sgpr_spill_count: 0
    .symbol:         _Z14cuParallelSqrtPfii.kd
    .uniform_work_group_size: 1
    .uses_dynamic_stack: false
    .vgpr_count:     7
    .vgpr_spill_count: 0
    .wavefront_size: 32
amdhsa.target:   amdgcn-amd-amdhsa--gfx1250
amdhsa.version:
  - 1
  - 2
...

	.end_amdgpu_metadata
